;; amdgpu-corpus repo=ROCm/rocFFT kind=compiled arch=gfx1201 opt=O3
	.text
	.amdgcn_target "amdgcn-amd-amdhsa--gfx1201"
	.amdhsa_code_object_version 6
	.protected	fft_rtc_back_len864_factors_3_6_16_3_wgs_54_tpt_54_halfLds_half_ip_CI_unitstride_sbrr_C2R_dirReg ; -- Begin function fft_rtc_back_len864_factors_3_6_16_3_wgs_54_tpt_54_halfLds_half_ip_CI_unitstride_sbrr_C2R_dirReg
	.globl	fft_rtc_back_len864_factors_3_6_16_3_wgs_54_tpt_54_halfLds_half_ip_CI_unitstride_sbrr_C2R_dirReg
	.p2align	8
	.type	fft_rtc_back_len864_factors_3_6_16_3_wgs_54_tpt_54_halfLds_half_ip_CI_unitstride_sbrr_C2R_dirReg,@function
fft_rtc_back_len864_factors_3_6_16_3_wgs_54_tpt_54_halfLds_half_ip_CI_unitstride_sbrr_C2R_dirReg: ; @fft_rtc_back_len864_factors_3_6_16_3_wgs_54_tpt_54_halfLds_half_ip_CI_unitstride_sbrr_C2R_dirReg
; %bb.0:
	s_clause 0x2
	s_load_b128 s[4:7], s[0:1], 0x0
	s_load_b64 s[8:9], s[0:1], 0x50
	s_load_b64 s[10:11], s[0:1], 0x18
	v_mul_u32_u24_e32 v1, 0x4be, v0
	v_mov_b32_e32 v3, 0
	s_delay_alu instid0(VALU_DEP_2) | instskip(NEXT) | instid1(VALU_DEP_1)
	v_lshrrev_b32_e32 v1, 16, v1
	v_add_nc_u32_e32 v5, ttmp9, v1
	v_mov_b32_e32 v1, 0
	v_mov_b32_e32 v2, 0
	;; [unrolled: 1-line block ×3, first 2 shown]
	s_wait_kmcnt 0x0
	v_cmp_lt_u64_e64 s2, s[6:7], 2
	s_delay_alu instid0(VALU_DEP_1)
	s_and_b32 vcc_lo, exec_lo, s2
	s_cbranch_vccnz .LBB0_8
; %bb.1:
	s_load_b64 s[2:3], s[0:1], 0x10
	v_mov_b32_e32 v1, 0
	v_mov_b32_e32 v2, 0
	s_add_nc_u64 s[12:13], s[10:11], 8
	s_mov_b64 s[14:15], 1
	s_wait_kmcnt 0x0
	s_add_nc_u64 s[16:17], s[2:3], 8
	s_mov_b32 s3, 0
.LBB0_2:                                ; =>This Inner Loop Header: Depth=1
	s_load_b64 s[18:19], s[16:17], 0x0
                                        ; implicit-def: $vgpr7_vgpr8
	s_mov_b32 s2, exec_lo
	s_wait_kmcnt 0x0
	v_or_b32_e32 v4, s19, v6
	s_delay_alu instid0(VALU_DEP_1)
	v_cmpx_ne_u64_e32 0, v[3:4]
	s_wait_alu 0xfffe
	s_xor_b32 s20, exec_lo, s2
	s_cbranch_execz .LBB0_4
; %bb.3:                                ;   in Loop: Header=BB0_2 Depth=1
	s_cvt_f32_u32 s2, s18
	s_cvt_f32_u32 s21, s19
	s_sub_nc_u64 s[24:25], 0, s[18:19]
	s_wait_alu 0xfffe
	s_delay_alu instid0(SALU_CYCLE_1) | instskip(SKIP_1) | instid1(SALU_CYCLE_2)
	s_fmamk_f32 s2, s21, 0x4f800000, s2
	s_wait_alu 0xfffe
	v_s_rcp_f32 s2, s2
	s_delay_alu instid0(TRANS32_DEP_1) | instskip(SKIP_1) | instid1(SALU_CYCLE_2)
	s_mul_f32 s2, s2, 0x5f7ffffc
	s_wait_alu 0xfffe
	s_mul_f32 s21, s2, 0x2f800000
	s_wait_alu 0xfffe
	s_delay_alu instid0(SALU_CYCLE_2) | instskip(SKIP_1) | instid1(SALU_CYCLE_2)
	s_trunc_f32 s21, s21
	s_wait_alu 0xfffe
	s_fmamk_f32 s2, s21, 0xcf800000, s2
	s_cvt_u32_f32 s23, s21
	s_wait_alu 0xfffe
	s_delay_alu instid0(SALU_CYCLE_1) | instskip(SKIP_1) | instid1(SALU_CYCLE_2)
	s_cvt_u32_f32 s22, s2
	s_wait_alu 0xfffe
	s_mul_u64 s[26:27], s[24:25], s[22:23]
	s_wait_alu 0xfffe
	s_mul_hi_u32 s29, s22, s27
	s_mul_i32 s28, s22, s27
	s_mul_hi_u32 s2, s22, s26
	s_mul_i32 s30, s23, s26
	s_wait_alu 0xfffe
	s_add_nc_u64 s[28:29], s[2:3], s[28:29]
	s_mul_hi_u32 s21, s23, s26
	s_mul_hi_u32 s31, s23, s27
	s_add_co_u32 s2, s28, s30
	s_wait_alu 0xfffe
	s_add_co_ci_u32 s2, s29, s21
	s_mul_i32 s26, s23, s27
	s_add_co_ci_u32 s27, s31, 0
	s_wait_alu 0xfffe
	s_add_nc_u64 s[26:27], s[2:3], s[26:27]
	s_wait_alu 0xfffe
	v_add_co_u32 v4, s2, s22, s26
	s_delay_alu instid0(VALU_DEP_1) | instskip(SKIP_1) | instid1(VALU_DEP_1)
	s_cmp_lg_u32 s2, 0
	s_add_co_ci_u32 s23, s23, s27
	v_readfirstlane_b32 s22, v4
	s_wait_alu 0xfffe
	s_delay_alu instid0(VALU_DEP_1)
	s_mul_u64 s[24:25], s[24:25], s[22:23]
	s_wait_alu 0xfffe
	s_mul_hi_u32 s27, s22, s25
	s_mul_i32 s26, s22, s25
	s_mul_hi_u32 s2, s22, s24
	s_mul_i32 s28, s23, s24
	s_wait_alu 0xfffe
	s_add_nc_u64 s[26:27], s[2:3], s[26:27]
	s_mul_hi_u32 s21, s23, s24
	s_mul_hi_u32 s22, s23, s25
	s_wait_alu 0xfffe
	s_add_co_u32 s2, s26, s28
	s_add_co_ci_u32 s2, s27, s21
	s_mul_i32 s24, s23, s25
	s_add_co_ci_u32 s25, s22, 0
	s_wait_alu 0xfffe
	s_add_nc_u64 s[24:25], s[2:3], s[24:25]
	s_wait_alu 0xfffe
	v_add_co_u32 v4, s2, v4, s24
	s_delay_alu instid0(VALU_DEP_1) | instskip(SKIP_1) | instid1(VALU_DEP_1)
	s_cmp_lg_u32 s2, 0
	s_add_co_ci_u32 s2, s23, s25
	v_mul_hi_u32 v13, v5, v4
	s_wait_alu 0xfffe
	v_mad_co_u64_u32 v[7:8], null, v5, s2, 0
	v_mad_co_u64_u32 v[9:10], null, v6, v4, 0
	;; [unrolled: 1-line block ×3, first 2 shown]
	s_delay_alu instid0(VALU_DEP_3) | instskip(SKIP_1) | instid1(VALU_DEP_4)
	v_add_co_u32 v4, vcc_lo, v13, v7
	s_wait_alu 0xfffd
	v_add_co_ci_u32_e32 v7, vcc_lo, 0, v8, vcc_lo
	s_delay_alu instid0(VALU_DEP_2) | instskip(SKIP_1) | instid1(VALU_DEP_2)
	v_add_co_u32 v4, vcc_lo, v4, v9
	s_wait_alu 0xfffd
	v_add_co_ci_u32_e32 v4, vcc_lo, v7, v10, vcc_lo
	s_wait_alu 0xfffd
	v_add_co_ci_u32_e32 v7, vcc_lo, 0, v12, vcc_lo
	s_delay_alu instid0(VALU_DEP_2) | instskip(SKIP_1) | instid1(VALU_DEP_2)
	v_add_co_u32 v4, vcc_lo, v4, v11
	s_wait_alu 0xfffd
	v_add_co_ci_u32_e32 v9, vcc_lo, 0, v7, vcc_lo
	s_delay_alu instid0(VALU_DEP_2) | instskip(SKIP_1) | instid1(VALU_DEP_3)
	v_mul_lo_u32 v10, s19, v4
	v_mad_co_u64_u32 v[7:8], null, s18, v4, 0
	v_mul_lo_u32 v11, s18, v9
	s_delay_alu instid0(VALU_DEP_2) | instskip(NEXT) | instid1(VALU_DEP_2)
	v_sub_co_u32 v7, vcc_lo, v5, v7
	v_add3_u32 v8, v8, v11, v10
	s_delay_alu instid0(VALU_DEP_1) | instskip(SKIP_1) | instid1(VALU_DEP_1)
	v_sub_nc_u32_e32 v10, v6, v8
	s_wait_alu 0xfffd
	v_subrev_co_ci_u32_e64 v10, s2, s19, v10, vcc_lo
	v_add_co_u32 v11, s2, v4, 2
	s_wait_alu 0xf1ff
	v_add_co_ci_u32_e64 v12, s2, 0, v9, s2
	v_sub_co_u32 v13, s2, v7, s18
	v_sub_co_ci_u32_e32 v8, vcc_lo, v6, v8, vcc_lo
	s_wait_alu 0xf1ff
	v_subrev_co_ci_u32_e64 v10, s2, 0, v10, s2
	s_delay_alu instid0(VALU_DEP_3) | instskip(NEXT) | instid1(VALU_DEP_3)
	v_cmp_le_u32_e32 vcc_lo, s18, v13
	v_cmp_eq_u32_e64 s2, s19, v8
	s_wait_alu 0xfffd
	v_cndmask_b32_e64 v13, 0, -1, vcc_lo
	v_cmp_le_u32_e32 vcc_lo, s19, v10
	s_wait_alu 0xfffd
	v_cndmask_b32_e64 v14, 0, -1, vcc_lo
	v_cmp_le_u32_e32 vcc_lo, s18, v7
	;; [unrolled: 3-line block ×3, first 2 shown]
	s_wait_alu 0xfffd
	v_cndmask_b32_e64 v15, 0, -1, vcc_lo
	v_cmp_eq_u32_e32 vcc_lo, s19, v10
	s_wait_alu 0xf1ff
	s_delay_alu instid0(VALU_DEP_2)
	v_cndmask_b32_e64 v7, v15, v7, s2
	s_wait_alu 0xfffd
	v_cndmask_b32_e32 v10, v14, v13, vcc_lo
	v_add_co_u32 v13, vcc_lo, v4, 1
	s_wait_alu 0xfffd
	v_add_co_ci_u32_e32 v14, vcc_lo, 0, v9, vcc_lo
	s_delay_alu instid0(VALU_DEP_3) | instskip(SKIP_2) | instid1(VALU_DEP_3)
	v_cmp_ne_u32_e32 vcc_lo, 0, v10
	s_wait_alu 0xfffd
	v_cndmask_b32_e32 v10, v13, v11, vcc_lo
	v_cndmask_b32_e32 v8, v14, v12, vcc_lo
	v_cmp_ne_u32_e32 vcc_lo, 0, v7
	s_wait_alu 0xfffd
	s_delay_alu instid0(VALU_DEP_2)
	v_dual_cndmask_b32 v7, v4, v10 :: v_dual_cndmask_b32 v8, v9, v8
.LBB0_4:                                ;   in Loop: Header=BB0_2 Depth=1
	s_wait_alu 0xfffe
	s_and_not1_saveexec_b32 s2, s20
	s_cbranch_execz .LBB0_6
; %bb.5:                                ;   in Loop: Header=BB0_2 Depth=1
	v_cvt_f32_u32_e32 v4, s18
	s_sub_co_i32 s20, 0, s18
	s_delay_alu instid0(VALU_DEP_1) | instskip(NEXT) | instid1(TRANS32_DEP_1)
	v_rcp_iflag_f32_e32 v4, v4
	v_mul_f32_e32 v4, 0x4f7ffffe, v4
	s_delay_alu instid0(VALU_DEP_1) | instskip(SKIP_1) | instid1(VALU_DEP_1)
	v_cvt_u32_f32_e32 v4, v4
	s_wait_alu 0xfffe
	v_mul_lo_u32 v7, s20, v4
	s_delay_alu instid0(VALU_DEP_1) | instskip(NEXT) | instid1(VALU_DEP_1)
	v_mul_hi_u32 v7, v4, v7
	v_add_nc_u32_e32 v4, v4, v7
	s_delay_alu instid0(VALU_DEP_1) | instskip(NEXT) | instid1(VALU_DEP_1)
	v_mul_hi_u32 v4, v5, v4
	v_mul_lo_u32 v7, v4, s18
	v_add_nc_u32_e32 v8, 1, v4
	s_delay_alu instid0(VALU_DEP_2) | instskip(NEXT) | instid1(VALU_DEP_1)
	v_sub_nc_u32_e32 v7, v5, v7
	v_subrev_nc_u32_e32 v9, s18, v7
	v_cmp_le_u32_e32 vcc_lo, s18, v7
	s_wait_alu 0xfffd
	s_delay_alu instid0(VALU_DEP_2) | instskip(NEXT) | instid1(VALU_DEP_1)
	v_dual_cndmask_b32 v7, v7, v9 :: v_dual_cndmask_b32 v4, v4, v8
	v_cmp_le_u32_e32 vcc_lo, s18, v7
	s_delay_alu instid0(VALU_DEP_2) | instskip(SKIP_1) | instid1(VALU_DEP_1)
	v_add_nc_u32_e32 v8, 1, v4
	s_wait_alu 0xfffd
	v_dual_cndmask_b32 v7, v4, v8 :: v_dual_mov_b32 v8, v3
.LBB0_6:                                ;   in Loop: Header=BB0_2 Depth=1
	s_wait_alu 0xfffe
	s_or_b32 exec_lo, exec_lo, s2
	s_load_b64 s[20:21], s[12:13], 0x0
	s_delay_alu instid0(VALU_DEP_1)
	v_mul_lo_u32 v4, v8, s18
	v_mul_lo_u32 v11, v7, s19
	v_mad_co_u64_u32 v[9:10], null, v7, s18, 0
	s_add_nc_u64 s[14:15], s[14:15], 1
	s_add_nc_u64 s[12:13], s[12:13], 8
	s_wait_alu 0xfffe
	v_cmp_ge_u64_e64 s2, s[14:15], s[6:7]
	s_add_nc_u64 s[16:17], s[16:17], 8
	s_delay_alu instid0(VALU_DEP_2) | instskip(NEXT) | instid1(VALU_DEP_3)
	v_add3_u32 v4, v10, v11, v4
	v_sub_co_u32 v5, vcc_lo, v5, v9
	s_wait_alu 0xfffd
	s_delay_alu instid0(VALU_DEP_2) | instskip(SKIP_3) | instid1(VALU_DEP_2)
	v_sub_co_ci_u32_e32 v4, vcc_lo, v6, v4, vcc_lo
	s_and_b32 vcc_lo, exec_lo, s2
	s_wait_kmcnt 0x0
	v_mul_lo_u32 v6, s21, v5
	v_mul_lo_u32 v4, s20, v4
	v_mad_co_u64_u32 v[1:2], null, s20, v5, v[1:2]
	s_delay_alu instid0(VALU_DEP_1)
	v_add3_u32 v2, v6, v2, v4
	s_wait_alu 0xfffe
	s_cbranch_vccnz .LBB0_9
; %bb.7:                                ;   in Loop: Header=BB0_2 Depth=1
	v_dual_mov_b32 v5, v7 :: v_dual_mov_b32 v6, v8
	s_branch .LBB0_2
.LBB0_8:
	v_dual_mov_b32 v8, v6 :: v_dual_mov_b32 v7, v5
.LBB0_9:
	s_lshl_b64 s[2:3], s[6:7], 3
	v_mul_hi_u32 v5, 0x4bda130, v0
	s_wait_alu 0xfffe
	s_add_nc_u64 s[2:3], s[10:11], s[2:3]
	s_load_b64 s[2:3], s[2:3], 0x0
	s_load_b64 s[0:1], s[0:1], 0x20
	s_wait_kmcnt 0x0
	v_mul_lo_u32 v3, s2, v8
	v_mul_lo_u32 v4, s3, v7
	v_mad_co_u64_u32 v[1:2], null, s2, v7, v[1:2]
	v_cmp_gt_u64_e32 vcc_lo, s[0:1], v[7:8]
	s_delay_alu instid0(VALU_DEP_2) | instskip(SKIP_1) | instid1(VALU_DEP_2)
	v_add3_u32 v2, v4, v2, v3
	v_mul_u32_u24_e32 v4, 54, v5
	v_lshlrev_b64_e32 v[2:3], 2, v[1:2]
	s_delay_alu instid0(VALU_DEP_2)
	v_sub_nc_u32_e32 v0, v0, v4
	s_and_saveexec_b32 s1, vcc_lo
	s_cbranch_execz .LBB0_13
; %bb.10:
	v_mov_b32_e32 v1, 0
	s_delay_alu instid0(VALU_DEP_3) | instskip(SKIP_2) | instid1(VALU_DEP_3)
	v_add_co_u32 v4, s0, s8, v2
	s_wait_alu 0xf1ff
	v_add_co_ci_u32_e64 v5, s0, s9, v3, s0
	v_lshlrev_b64_e32 v[6:7], 2, v[0:1]
	s_mov_b32 s2, exec_lo
	s_delay_alu instid0(VALU_DEP_1) | instskip(SKIP_1) | instid1(VALU_DEP_2)
	v_add_co_u32 v6, s0, v4, v6
	s_wait_alu 0xf1ff
	v_add_co_ci_u32_e64 v7, s0, v5, v7, s0
	s_clause 0xf
	global_load_b32 v8, v[6:7], off
	global_load_b32 v9, v[6:7], off offset:216
	global_load_b32 v10, v[6:7], off offset:432
	;; [unrolled: 1-line block ×15, first 2 shown]
	v_lshl_add_u32 v7, v0, 2, 0
	s_delay_alu instid0(VALU_DEP_1)
	v_add_nc_u32_e32 v24, 0x400, v7
	v_add_nc_u32_e32 v23, 0x200, v7
	;; [unrolled: 1-line block ×4, first 2 shown]
	s_wait_loadcnt 0xe
	ds_store_2addr_b32 v7, v8, v9 offset1:54
	s_wait_loadcnt 0xc
	ds_store_2addr_b32 v7, v10, v11 offset0:108 offset1:162
	s_wait_loadcnt 0xa
	ds_store_2addr_b32 v23, v12, v13 offset0:88 offset1:142
	;; [unrolled: 2-line block ×7, first 2 shown]
	v_cmpx_eq_u32_e32 53, v0
	s_cbranch_execz .LBB0_12
; %bb.11:
	global_load_b32 v4, v[4:5], off offset:3456
	v_mov_b32_e32 v0, 53
	s_wait_loadcnt 0x0
	ds_store_b32 v1, v4 offset:3456
.LBB0_12:
	s_wait_alu 0xfffe
	s_or_b32 exec_lo, exec_lo, s2
.LBB0_13:
	s_wait_alu 0xfffe
	s_or_b32 exec_lo, exec_lo, s1
	v_lshlrev_b32_e32 v1, 2, v0
	global_wb scope:SCOPE_SE
	s_wait_dscnt 0x0
	s_barrier_signal -1
	s_barrier_wait -1
	global_inv scope:SCOPE_SE
	v_add_nc_u32_e32 v22, 0, v1
	v_sub_nc_u32_e32 v6, 0, v1
	s_mov_b32 s1, exec_lo
                                        ; implicit-def: $vgpr4_vgpr5
	ds_load_u16 v9, v22
	ds_load_u16 v10, v6 offset:3456
	s_wait_dscnt 0x0
	v_add_f16_e32 v8, v10, v9
	v_sub_f16_e32 v7, v9, v10
	v_cmpx_ne_u32_e32 0, v0
	s_wait_alu 0xfffe
	s_xor_b32 s1, exec_lo, s1
	s_cbranch_execz .LBB0_15
; %bb.14:
	v_mov_b32_e32 v1, 0
	v_add_f16_e32 v8, v10, v9
	v_sub_f16_e32 v9, v9, v10
	s_delay_alu instid0(VALU_DEP_3) | instskip(NEXT) | instid1(VALU_DEP_1)
	v_lshlrev_b64_e32 v[4:5], 2, v[0:1]
	v_add_co_u32 v4, s0, s4, v4
	s_wait_alu 0xf1ff
	s_delay_alu instid0(VALU_DEP_2)
	v_add_co_ci_u32_e64 v5, s0, s5, v5, s0
	global_load_b32 v4, v[4:5], off offset:3444
	ds_load_u16 v5, v6 offset:3458
	ds_load_u16 v7, v22 offset:2
	s_wait_dscnt 0x0
	v_add_f16_e32 v10, v5, v7
	v_sub_f16_e32 v5, v7, v5
	s_wait_loadcnt 0x0
	v_lshrrev_b32_e32 v11, 16, v4
	s_delay_alu instid0(VALU_DEP_1) | instskip(NEXT) | instid1(VALU_DEP_3)
	v_fma_f16 v12, -v9, v11, v8
	v_fma_f16 v13, v10, v11, -v5
	v_fma_f16 v7, v10, v11, v5
	v_fma_f16 v8, v9, v11, v8
	s_delay_alu instid0(VALU_DEP_4) | instskip(NEXT) | instid1(VALU_DEP_4)
	v_fmac_f16_e32 v12, v4, v10
	v_fmac_f16_e32 v13, v9, v4
	s_delay_alu instid0(VALU_DEP_4) | instskip(NEXT) | instid1(VALU_DEP_4)
	v_fmac_f16_e32 v7, v9, v4
	v_fma_f16 v8, -v4, v10, v8
	v_dual_mov_b32 v5, v1 :: v_dual_mov_b32 v4, v0
	s_delay_alu instid0(VALU_DEP_4)
	v_pack_b32_f16 v9, v12, v13
	ds_store_b32 v6, v9 offset:3456
.LBB0_15:
	s_wait_alu 0xfffe
	s_and_not1_saveexec_b32 s0, s1
	s_cbranch_execz .LBB0_17
; %bb.16:
	v_mov_b32_e32 v1, 0
	ds_load_b32 v4, v1 offset:1728
	s_wait_dscnt 0x0
	v_pk_mul_f16 v9, 0xc0004000, v4
	v_mov_b32_e32 v4, 0
	v_mov_b32_e32 v5, 0
	ds_store_b32 v1, v9 offset:1728
.LBB0_17:
	s_wait_alu 0xfffe
	s_or_b32 exec_lo, exec_lo, s0
	v_lshlrev_b64_e32 v[4:5], 2, v[4:5]
	s_add_nc_u64 s[0:1], s[4:5], 0xd74
	v_perm_b32 v7, v7, v8, 0x5040100
	s_wait_alu 0xfffe
	s_delay_alu instid0(VALU_DEP_2)
	v_add_co_u32 v4, s0, s0, v4
	s_wait_alu 0xf1ff
	v_add_co_ci_u32_e64 v5, s0, s1, v5, s0
	v_cmp_gt_u32_e64 s0, 18, v0
	s_clause 0x6
	global_load_b32 v1, v[4:5], off offset:216
	global_load_b32 v9, v[4:5], off offset:432
	;; [unrolled: 1-line block ×7, first 2 shown]
	ds_store_b32 v22, v7
	ds_load_b32 v5, v22 offset:216
	ds_load_b32 v7, v6 offset:3240
	s_wait_dscnt 0x1
	v_lshrrev_b32_e32 v8, 16, v5
	s_wait_dscnt 0x0
	v_lshrrev_b32_e32 v14, 16, v7
	v_add_f16_e32 v15, v5, v7
	v_sub_f16_e32 v5, v5, v7
	s_delay_alu instid0(VALU_DEP_3) | instskip(SKIP_3) | instid1(VALU_DEP_1)
	v_add_f16_e32 v7, v14, v8
	v_sub_f16_e32 v8, v8, v14
	s_wait_loadcnt 0x6
	v_lshrrev_b32_e32 v16, 16, v1
	v_fma_f16 v14, v5, v16, v15
	s_delay_alu instid0(VALU_DEP_3) | instskip(SKIP_2) | instid1(VALU_DEP_4)
	v_fma_f16 v17, v7, v16, v8
	v_fma_f16 v15, -v5, v16, v15
	v_fma_f16 v8, v7, v16, -v8
	v_fma_f16 v14, -v1, v7, v14
	s_delay_alu instid0(VALU_DEP_4) | instskip(NEXT) | instid1(VALU_DEP_4)
	v_fmac_f16_e32 v17, v5, v1
	v_fmac_f16_e32 v15, v1, v7
	s_delay_alu instid0(VALU_DEP_4) | instskip(NEXT) | instid1(VALU_DEP_3)
	v_fmac_f16_e32 v8, v5, v1
	v_pack_b32_f16 v1, v14, v17
	s_wait_loadcnt 0x5
	v_lshrrev_b32_e32 v14, 16, v9
	s_delay_alu instid0(VALU_DEP_3)
	v_pack_b32_f16 v5, v15, v8
	ds_store_b32 v22, v1 offset:216
	ds_store_b32 v6, v5 offset:3240
	ds_load_b32 v1, v22 offset:432
	ds_load_b32 v5, v6 offset:3024
	s_wait_dscnt 0x1
	v_lshrrev_b32_e32 v7, 16, v1
	s_wait_dscnt 0x0
	v_lshrrev_b32_e32 v8, 16, v5
	v_add_f16_e32 v15, v1, v5
	v_sub_f16_e32 v1, v1, v5
	s_delay_alu instid0(VALU_DEP_3) | instskip(SKIP_1) | instid1(VALU_DEP_3)
	v_add_f16_e32 v5, v8, v7
	v_sub_f16_e32 v7, v7, v8
	v_fma_f16 v8, v1, v14, v15
	v_fma_f16 v15, -v1, v14, v15
	s_delay_alu instid0(VALU_DEP_3) | instskip(SKIP_1) | instid1(VALU_DEP_4)
	v_fma_f16 v16, v5, v14, v7
	v_fma_f16 v7, v5, v14, -v7
	v_fma_f16 v8, -v9, v5, v8
	s_delay_alu instid0(VALU_DEP_4) | instskip(NEXT) | instid1(VALU_DEP_4)
	v_fmac_f16_e32 v15, v9, v5
	v_fmac_f16_e32 v16, v1, v9
	s_delay_alu instid0(VALU_DEP_4) | instskip(SKIP_2) | instid1(VALU_DEP_3)
	v_fmac_f16_e32 v7, v1, v9
	s_wait_loadcnt 0x4
	v_lshrrev_b32_e32 v9, 16, v10
	v_pack_b32_f16 v1, v8, v16
	s_delay_alu instid0(VALU_DEP_3)
	v_pack_b32_f16 v5, v15, v7
	ds_store_b32 v22, v1 offset:432
	ds_store_b32 v6, v5 offset:3024
	ds_load_b32 v1, v22 offset:648
	ds_load_b32 v5, v6 offset:2808
	s_wait_dscnt 0x1
	v_lshrrev_b32_e32 v7, 16, v1
	s_wait_dscnt 0x0
	v_lshrrev_b32_e32 v8, 16, v5
	v_add_f16_e32 v14, v1, v5
	v_sub_f16_e32 v1, v1, v5
	s_delay_alu instid0(VALU_DEP_3) | instskip(SKIP_1) | instid1(VALU_DEP_3)
	v_add_f16_e32 v5, v8, v7
	v_sub_f16_e32 v7, v7, v8
	v_fma_f16 v8, v1, v9, v14
	v_fma_f16 v14, -v1, v9, v14
	s_delay_alu instid0(VALU_DEP_3) | instskip(SKIP_1) | instid1(VALU_DEP_4)
	v_fma_f16 v15, v5, v9, v7
	v_fma_f16 v7, v5, v9, -v7
	v_fma_f16 v8, -v10, v5, v8
	s_delay_alu instid0(VALU_DEP_4) | instskip(SKIP_4) | instid1(VALU_DEP_2)
	v_fmac_f16_e32 v14, v10, v5
	s_wait_loadcnt 0x3
	v_lshrrev_b32_e32 v9, 16, v11
	v_fmac_f16_e32 v15, v1, v10
	v_fmac_f16_e32 v7, v1, v10
	v_pack_b32_f16 v1, v8, v15
	s_delay_alu instid0(VALU_DEP_2)
	v_pack_b32_f16 v5, v14, v7
	ds_store_b32 v22, v1 offset:648
	ds_store_b32 v6, v5 offset:2808
	ds_load_b32 v1, v22 offset:864
	ds_load_b32 v5, v6 offset:2592
	s_wait_dscnt 0x1
	v_lshrrev_b32_e32 v7, 16, v1
	s_wait_dscnt 0x0
	v_lshrrev_b32_e32 v8, 16, v5
	v_add_f16_e32 v10, v1, v5
	v_sub_f16_e32 v1, v1, v5
	s_delay_alu instid0(VALU_DEP_3) | instskip(SKIP_1) | instid1(VALU_DEP_3)
	v_add_f16_e32 v5, v8, v7
	v_sub_f16_e32 v7, v7, v8
	v_fma_f16 v8, v1, v9, v10
	v_fma_f16 v10, -v1, v9, v10
	s_delay_alu instid0(VALU_DEP_3) | instskip(SKIP_1) | instid1(VALU_DEP_4)
	v_fma_f16 v14, v5, v9, v7
	v_fma_f16 v7, v5, v9, -v7
	v_fma_f16 v8, -v11, v5, v8
	s_delay_alu instid0(VALU_DEP_4) | instskip(SKIP_4) | instid1(VALU_DEP_2)
	v_fmac_f16_e32 v10, v11, v5
	s_wait_loadcnt 0x2
	v_lshrrev_b32_e32 v9, 16, v12
	v_fmac_f16_e32 v14, v1, v11
	v_fmac_f16_e32 v7, v1, v11
	v_pack_b32_f16 v1, v8, v14
	s_delay_alu instid0(VALU_DEP_2)
	;; [unrolled: 28-line block ×4, first 2 shown]
	v_pack_b32_f16 v5, v10, v7
	ds_store_b32 v22, v1 offset:1296
	ds_store_b32 v6, v5 offset:2160
	ds_load_b32 v1, v22 offset:1512
	ds_load_b32 v5, v6 offset:1944
	s_wait_dscnt 0x1
	v_lshrrev_b32_e32 v7, 16, v1
	s_wait_dscnt 0x0
	v_lshrrev_b32_e32 v8, 16, v5
	v_add_f16_e32 v10, v1, v5
	v_sub_f16_e32 v1, v1, v5
	s_delay_alu instid0(VALU_DEP_3) | instskip(SKIP_1) | instid1(VALU_DEP_3)
	v_add_f16_e32 v5, v8, v7
	v_sub_f16_e32 v7, v7, v8
	v_fma_f16 v8, v1, v9, v10
	v_fma_f16 v10, -v1, v9, v10
	s_delay_alu instid0(VALU_DEP_3) | instskip(SKIP_1) | instid1(VALU_DEP_4)
	v_fma_f16 v11, v5, v9, v7
	v_fma_f16 v7, v5, v9, -v7
	v_fma_f16 v8, -v4, v5, v8
	s_delay_alu instid0(VALU_DEP_4)
	v_fmac_f16_e32 v10, v4, v5
	v_add_nc_u32_e32 v9, 0x600, v22
	v_fmac_f16_e32 v11, v1, v4
	v_fmac_f16_e32 v7, v1, v4
	v_add_nc_u32_e32 v4, 0x200, v22
	v_add_nc_u32_e32 v1, 0x400, v22
	s_delay_alu instid0(VALU_DEP_4) | instskip(NEXT) | instid1(VALU_DEP_4)
	v_pack_b32_f16 v5, v8, v11
	v_pack_b32_f16 v7, v10, v7
	v_add_nc_u32_e32 v11, 0xc00, v22
	ds_store_b32 v22, v5 offset:1512
	ds_store_b32 v6, v7 offset:1944
	v_add_nc_u32_e32 v5, 0x800, v22
	global_wb scope:SCOPE_SE
	s_wait_dscnt 0x0
	s_barrier_signal -1
	s_barrier_wait -1
	global_inv scope:SCOPE_SE
	global_wb scope:SCOPE_SE
	s_barrier_signal -1
	s_barrier_wait -1
	global_inv scope:SCOPE_SE
	ds_load_2addr_b32 v[7:8], v4 offset0:88 offset1:142
	ds_load_2addr_b32 v[9:10], v9 offset0:120 offset1:174
	;; [unrolled: 1-line block ×3, first 2 shown]
	ds_load_2addr_b32 v[13:14], v22 offset1:54
	ds_load_2addr_b32 v[15:16], v1 offset0:32 offset1:86
	ds_load_2addr_b32 v[17:18], v5 offset0:64 offset1:118
	ds_load_2addr_b32 v[19:20], v22 offset0:108 offset1:162
	ds_load_2addr_b32 v[23:24], v1 offset0:140 offset1:194
	ds_load_2addr_b32 v[25:26], v5 offset0:172 offset1:226
	v_lshl_add_u32 v6, v0, 3, v22
	global_wb scope:SCOPE_SE
	s_wait_dscnt 0x0
	s_barrier_signal -1
	s_barrier_wait -1
	global_inv scope:SCOPE_SE
	v_add_nc_u32_e32 v27, 0x798, v6
	v_add_nc_u32_e32 v28, 0x400, v6
	;; [unrolled: 1-line block ×4, first 2 shown]
	v_pk_add_f16 v4, v7, v9
	v_pk_add_f16 v30, v9, v11
	v_pk_add_f16 v31, v9, v11 neg_lo:[0,1] neg_hi:[0,1]
	v_pk_add_f16 v9, v8, v10
	v_pk_add_f16 v32, v10, v12
	v_pk_add_f16 v10, v10, v12 neg_lo:[0,1] neg_hi:[0,1]
	;; [unrolled: 3-line block ×6, first 2 shown]
	v_pk_add_f16 v4, v4, v11
	v_pk_fma_f16 v7, v30, 0.5, v7 op_sel_hi:[1,0,1] neg_lo:[1,0,0] neg_hi:[1,0,0]
	v_pk_fma_f16 v8, v32, 0.5, v8 op_sel_hi:[1,0,1] neg_lo:[1,0,0] neg_hi:[1,0,0]
	v_pk_mul_f16 v11, 0x3aee, v10 op_sel_hi:[0,1]
	v_pk_fma_f16 v13, v34, 0.5, v13 op_sel_hi:[1,0,1] neg_lo:[1,0,0] neg_hi:[1,0,0]
	v_pk_mul_f16 v15, 0x3aee, v15 op_sel_hi:[0,1]
	;; [unrolled: 2-line block ×3, first 2 shown]
	v_pk_add_f16 v9, v9, v12
	v_pk_add_f16 v12, v33, v17
	;; [unrolled: 1-line block ×4, first 2 shown]
	v_pk_fma_f16 v19, v38, 0.5, v19 op_sel_hi:[1,0,1] neg_lo:[1,0,0] neg_hi:[1,0,0]
	v_pk_mul_f16 v23, 0x3aee, v23 op_sel_hi:[0,1]
	v_pk_fma_f16 v20, v40, 0.5, v20 op_sel_hi:[1,0,1] neg_lo:[1,0,0] neg_hi:[1,0,0]
	v_pk_mul_f16 v25, 0x3aee, v24 op_sel_hi:[0,1]
	v_pk_add_f16 v30, v39, v26
	v_pk_fma_f16 v24, 0x3aee, v31, v7 op_sel:[0,0,1] op_sel_hi:[0,1,0] neg_lo:[0,1,0] neg_hi:[0,1,0]
	v_pk_fma_f16 v26, 0x3aee, v31, v7 op_sel:[0,0,1] op_sel_hi:[0,1,0]
	v_pk_add_f16 v10, v8, v11 op_sel:[0,1] op_sel_hi:[1,0] neg_lo:[0,1] neg_hi:[0,1]
	v_pk_add_f16 v11, v8, v11 op_sel:[0,1] op_sel_hi:[1,0]
	v_pk_add_f16 v7, v13, v15 op_sel:[0,1] op_sel_hi:[1,0] neg_lo:[0,1] neg_hi:[0,1]
	v_pk_add_f16 v8, v13, v15 op_sel:[0,1] op_sel_hi:[1,0]
	;; [unrolled: 2-line block ×5, first 2 shown]
	v_lshrrev_b32_e32 v25, 16, v10
	v_bfi_b32 v23, 0xffff, v7, v8
	v_bfi_b32 v7, 0xffff, v8, v7
	;; [unrolled: 1-line block ×8, first 2 shown]
	v_alignbit_b32 v20, v24, v26, 16
	v_alignbit_b32 v31, v26, v24, 16
	ds_store_2addr_b32 v6, v12, v23 offset1:1
	ds_store_2addr_b32 v6, v17, v8 offset0:162 offset1:163
	ds_store_2addr_b32 v6, v7, v13 offset0:2 offset1:164
	ds_store_2addr_b32 v27, v30, v16 offset1:1
	ds_store_2addr_b32 v28, v15, v19 offset0:70 offset1:232
	ds_store_2addr_b32 v21, v18, v14 offset1:1
	ds_store_b32 v6, v4 offset:2592
	ds_store_2addr_b32 v29, v31, v20 offset1:1
	s_and_saveexec_b32 s1, s0
	s_cbranch_execz .LBB0_19
; %bb.18:
	v_add_nc_u32_e32 v7, 0xcac, v6
	v_bfi_b32 v8, 0xffff, v10, v11
	v_perm_b32 v12, v25, v11, 0x5040100
	ds_store_b32 v6, v9 offset:3240
	ds_store_2addr_b32 v7, v8, v12 offset1:1
.LBB0_19:
	s_wait_alu 0xfffe
	s_or_b32 exec_lo, exec_lo, s1
	v_add_nc_u32_e32 v8, 0xa00, v22
	global_wb scope:SCOPE_SE
	s_wait_dscnt 0x0
	s_barrier_signal -1
	s_barrier_wait -1
	global_inv scope:SCOPE_SE
	ds_load_2addr_b32 v[6:7], v22 offset1:54
	ds_load_2addr_b32 v[20:21], v22 offset0:144 offset1:198
	ds_load_2addr_b32 v[18:19], v1 offset0:32 offset1:86
	;; [unrolled: 1-line block ×5, first 2 shown]
	v_lshrrev_b32_e32 v5, 16, v24
	v_cmp_gt_u32_e64 s1, 36, v0
	s_delay_alu instid0(VALU_DEP_1)
	s_and_saveexec_b32 s2, s1
	s_cbranch_execz .LBB0_21
; %bb.20:
	v_add_nc_u32_e32 v1, 0x600, v22
	ds_load_2addr_b32 v[10:11], v8 offset0:44 offset1:188
	ds_load_2addr_b32 v[8:9], v1 offset0:12 offset1:156
	;; [unrolled: 1-line block ×3, first 2 shown]
	s_wait_dscnt 0x2
	v_lshrrev_b32_e32 v25, 16, v11
	s_wait_dscnt 0x1
	v_lshrrev_b32_e32 v24, 16, v8
	s_wait_dscnt 0x0
	v_alignbit_b32 v26, v8, v5, 16
	v_bfi_b32 v11, 0xffff, v11, v10
.LBB0_21:
	s_wait_alu 0xfffe
	s_or_b32 exec_lo, exec_lo, s2
	v_and_b32_e32 v8, 0xff, v0
	v_add_nc_u32_e32 v23, 54, v0
	s_wait_dscnt 0x4
	v_lshrrev_b32_e32 v52, 16, v20
	s_wait_dscnt 0x3
	v_lshrrev_b32_e32 v53, 16, v18
	;; [unrolled: 2-line block ×3, first 2 shown]
	v_mul_lo_u16 v1, 0xab, v8
	v_and_b32_e32 v27, 0xff, v23
	s_wait_dscnt 0x1
	v_lshrrev_b32_e32 v55, 16, v14
	s_wait_dscnt 0x0
	v_lshrrev_b32_e32 v56, 16, v12
	v_lshrrev_b32_e32 v50, 16, v15
	v_lshrrev_b16 v29, 9, v1
	v_add_nc_u32_e32 v1, 0x6c, v0
	v_mul_lo_u16 v27, 0xab, v27
	v_lshrrev_b32_e32 v51, 16, v13
	v_lshrrev_b32_e32 v57, 16, v21
	v_mul_lo_u16 v28, v29, 3
	v_and_b32_e32 v30, 0xff, v1
	v_lshrrev_b16 v42, 9, v27
	v_and_b32_e32 v29, 0xffff, v29
	v_lshrrev_b32_e32 v58, 16, v19
	v_sub_nc_u16 v28, v0, v28
	v_mul_lo_u16 v30, 0xab, v30
	v_lshrrev_b32_e32 v59, 16, v17
	v_mul_u32_u24_e32 v61, 0x48, v29
	v_lshrrev_b32_e32 v60, 16, v26
	v_and_b32_e32 v43, 0xff, v28
	v_lshrrev_b16 v27, 9, v30
	v_mul_lo_u16 v28, v42, 3
	v_and_b32_e32 v42, 0xffff, v42
	v_lshrrev_b32_e32 v62, 16, v9
	v_mul_u32_u24_e32 v30, 5, v43
	v_mul_lo_u16 v31, v27, 3
	v_sub_nc_u16 v28, v23, v28
	v_mul_u32_u24_e32 v42, 0x48, v42
	v_lshlrev_b32_e32 v43, 2, v43
	v_lshlrev_b32_e32 v34, 2, v30
	v_sub_nc_u16 v35, v1, v31
	v_and_b32_e32 v44, 0xff, v28
	v_lshrrev_b32_e32 v63, 16, v11
	v_add3_u32 v43, 0, v61, v43
	s_clause 0x1
	global_load_b128 v[30:33], v34, s[4:5]
	global_load_b32 v45, v34, s[4:5] offset:16
	v_and_b32_e32 v28, 0xff, v35
	v_mul_u32_u24_e32 v34, 5, v44
	v_lshlrev_b32_e32 v44, 2, v44
	v_lshrrev_b32_e32 v48, 16, v6
	v_lshrrev_b32_e32 v49, 16, v7
	v_mul_u32_u24_e32 v35, 5, v28
	v_lshlrev_b32_e32 v38, 2, v34
	v_add3_u32 v42, 0, v42, v44
	v_lshrrev_b32_e32 v29, 16, v4
	s_delay_alu instid0(VALU_DEP_4)
	v_lshlrev_b32_e32 v46, 2, v35
	s_clause 0x3
	global_load_b128 v[34:37], v38, s[4:5]
	global_load_b32 v47, v38, s[4:5] offset:16
	global_load_b128 v[38:41], v46, s[4:5]
	global_load_b32 v46, v46, s[4:5] offset:16
	global_wb scope:SCOPE_SE
	s_wait_loadcnt 0x0
	s_barrier_signal -1
	s_barrier_wait -1
	global_inv scope:SCOPE_SE
	v_lshrrev_b32_e32 v44, 16, v30
	v_lshrrev_b32_e32 v61, 16, v31
	;; [unrolled: 1-line block ×5, first 2 shown]
	v_mul_f16_e32 v67, v44, v52
	v_mul_f16_e32 v44, v44, v20
	v_mul_f16_e32 v68, v61, v53
	v_mul_f16_e32 v61, v61, v18
	v_mul_f16_e32 v69, v64, v54
	v_mul_f16_e32 v64, v64, v16
	v_mul_f16_e32 v70, v65, v55
	v_mul_f16_e32 v65, v65, v14
	v_mul_f16_e32 v71, v66, v56
	v_mul_f16_e32 v66, v66, v12
	v_lshrrev_b32_e32 v72, 16, v34
	v_lshrrev_b32_e32 v73, 16, v35
	;; [unrolled: 1-line block ×10, first 2 shown]
	v_fmac_f16_e32 v67, v30, v20
	v_fma_f16 v20, v30, v52, -v44
	v_fmac_f16_e32 v68, v31, v18
	v_fma_f16 v31, v31, v53, -v61
	;; [unrolled: 2-line block ×5, first 2 shown]
	v_mul_f16_e32 v45, v72, v57
	v_mul_f16_e32 v52, v72, v21
	;; [unrolled: 1-line block ×20, first 2 shown]
	v_fmac_f16_e32 v45, v34, v21
	v_fma_f16 v21, v34, v57, -v52
	v_fmac_f16_e32 v53, v35, v19
	v_fma_f16 v19, v35, v58, -v54
	;; [unrolled: 2-line block ×9, first 2 shown]
	v_add_f16_e32 v24, v68, v70
	v_sub_f16_e32 v25, v31, v33
	v_add_f16_e32 v26, v48, v31
	v_add_f16_e32 v31, v31, v33
	;; [unrolled: 1-line block ×4, first 2 shown]
	v_sub_f16_e32 v39, v32, v44
	v_add_f16_e32 v40, v20, v32
	v_add_f16_e32 v32, v32, v44
	v_fma_f16 v9, v63, v41, -v75
	v_fmac_f16_e32 v14, v11, v46
	v_add_f16_e32 v11, v6, v68
	v_sub_f16_e32 v36, v68, v70
	v_sub_f16_e32 v41, v69, v71
	v_fma_f16 v24, -0.5, v24, v6
	v_add_f16_e32 v6, v26, v33
	v_fmac_f16_e32 v48, -0.5, v31
	v_add_f16_e32 v26, v37, v71
	v_fmac_f16_e32 v67, -0.5, v38
	v_fmac_f16_e32 v20, -0.5, v32
	v_add_f16_e32 v33, v53, v61
	v_sub_f16_e32 v37, v19, v34
	v_add_f16_e32 v38, v49, v19
	v_add_f16_e32 v19, v19, v34
	;; [unrolled: 1-line block ×3, first 2 shown]
	v_sub_f16_e32 v47, v17, v35
	v_add_f16_e32 v50, v21, v17
	v_add_f16_e32 v17, v17, v35
	;; [unrolled: 1-line block ×6, first 2 shown]
	v_sub_f16_e32 v40, v53, v61
	v_sub_f16_e32 v51, v55, v65
	v_fmamk_f16 v60, v25, 0xbaee, v24
	v_fmac_f16_e32 v24, 0x3aee, v25
	v_fmamk_f16 v25, v36, 0x3aee, v48
	v_fmac_f16_e32 v48, 0xbaee, v36
	;; [unrolled: 2-line block ×3, first 2 shown]
	v_fmamk_f16 v39, v41, 0x3aee, v20
	v_fmac_f16_e32 v7, -0.5, v33
	v_fmac_f16_e32 v49, -0.5, v19
	;; [unrolled: 1-line block ×4, first 2 shown]
	v_add_f16_e32 v11, v11, v70
	v_add_f16_e32 v52, v18, v12
	;; [unrolled: 1-line block ×4, first 2 shown]
	v_sub_f16_e32 v59, v30, v14
	v_fmac_f16_e32 v20, 0xbaee, v41
	v_add_f16_e32 v32, v32, v61
	v_add_f16_e32 v33, v38, v34
	;; [unrolled: 1-line block ×3, first 2 shown]
	v_fma_f16 v38, -0.5, v58, v5
	v_add_f16_e32 v34, v50, v35
	v_mul_f16_e32 v44, 0xbaee, v39
	v_mul_f16_e32 v39, 0.5, v39
	v_fmamk_f16 v50, v37, 0xbaee, v7
	v_fmac_f16_e32 v7, 0x3aee, v37
	v_fmamk_f16 v37, v40, 0x3aee, v49
	v_fmac_f16_e32 v49, 0xbaee, v40
	;; [unrolled: 2-line block ×4, first 2 shown]
	v_sub_f16_e32 v53, v13, v9
	v_sub_f16_e32 v55, v18, v12
	v_sub_f16_e32 v57, v15, v10
	v_add_f16_e32 v41, v11, v26
	v_add_f16_e32 v62, v6, v31
	v_sub_f16_e32 v26, v11, v26
	v_sub_f16_e32 v31, v6, v31
	v_fma_f16 v6, -0.5, v52, v4
	v_fma_f16 v11, -0.5, v54, v29
	;; [unrolled: 1-line block ×3, first 2 shown]
	v_mul_f16_e32 v46, 0xbaee, v20
	v_mul_f16_e32 v20, -0.5, v20
	v_add_f16_e32 v51, v32, v19
	v_sub_f16_e32 v54, v32, v19
	v_fmamk_f16 v32, v59, 0x3aee, v38
	v_fmac_f16_e32 v38, 0xbaee, v59
	v_fmac_f16_e32 v44, 0.5, v36
	v_fmac_f16_e32 v39, 0x3aee, v36
	v_mul_f16_e32 v36, 0xbaee, v47
	v_mul_f16_e32 v47, 0.5, v47
	v_mul_f16_e32 v56, 0xbaee, v21
	v_mul_f16_e32 v21, -0.5, v21
	v_add_f16_e32 v52, v33, v34
	v_sub_f16_e32 v34, v33, v34
	v_fmamk_f16 v17, v53, 0xbaee, v6
	v_fmac_f16_e32 v6, 0x3aee, v53
	v_fmamk_f16 v19, v55, 0x3aee, v11
	v_fmac_f16_e32 v11, 0xbaee, v55
	;; [unrolled: 2-line block ×3, first 2 shown]
	v_pack_b32_f16 v55, v26, v31
	v_fmac_f16_e32 v46, -0.5, v67
	v_fmac_f16_e32 v20, 0x3aee, v67
	v_mul_f16_e32 v26, 0xbaee, v32
	v_mul_f16_e32 v31, 0xbaee, v38
	v_mul_f16_e32 v32, 0.5, v32
	v_mul_f16_e32 v33, -0.5, v38
	v_fmac_f16_e32 v36, 0.5, v40
	v_fmac_f16_e32 v47, 0x3aee, v40
	v_fmac_f16_e32 v56, -0.5, v45
	v_fmac_f16_e32 v21, 0x3aee, v45
	v_pack_b32_f16 v38, v51, v52
	v_pack_b32_f16 v34, v54, v34
	v_add_f16_e32 v51, v60, v44
	v_add_f16_e32 v52, v24, v46
	;; [unrolled: 1-line block ×4, first 2 shown]
	v_fmac_f16_e32 v26, 0.5, v53
	v_fmac_f16_e32 v31, -0.5, v35
	v_fmac_f16_e32 v32, 0x3aee, v53
	v_fmac_f16_e32 v33, 0x3aee, v35
	v_sub_f16_e32 v44, v60, v44
	v_sub_f16_e32 v46, v24, v46
	v_sub_f16_e32 v39, v25, v39
	v_sub_f16_e32 v48, v48, v20
	v_add_f16_e32 v35, v50, v36
	v_add_f16_e32 v45, v37, v47
	;; [unrolled: 1-line block ×4, first 2 shown]
	v_sub_f16_e32 v36, v50, v36
	v_sub_f16_e32 v7, v7, v56
	;; [unrolled: 1-line block ×4, first 2 shown]
	v_pack_b32_f16 v41, v41, v62
	v_sub_f16_e32 v20, v17, v26
	v_sub_f16_e32 v21, v6, v31
	;; [unrolled: 1-line block ×3, first 2 shown]
	v_pack_b32_f16 v49, v51, v54
	v_sub_f16_e32 v25, v11, v33
	v_pack_b32_f16 v50, v52, v57
	v_pack_b32_f16 v39, v44, v39
	;; [unrolled: 1-line block ×7, first 2 shown]
	ds_store_2addr_b32 v43, v41, v49 offset1:3
	ds_store_2addr_b32 v43, v50, v55 offset0:6 offset1:9
	ds_store_2addr_b32 v43, v39, v44 offset0:12 offset1:15
	ds_store_2addr_b32 v42, v38, v35 offset1:3
	ds_store_2addr_b32 v42, v40, v34 offset0:6 offset1:9
	ds_store_2addr_b32 v42, v36, v7 offset0:12 offset1:15
	s_and_saveexec_b32 s2, s1
	s_cbranch_execz .LBB0_23
; %bb.22:
	v_add_f16_e32 v7, v29, v13
	v_add_f16_e32 v5, v5, v15
	;; [unrolled: 1-line block ×8, first 2 shown]
	v_and_b32_e32 v10, 0xffff, v27
	v_add_f16_e32 v4, v4, v12
	v_add_f16_e32 v11, v13, v14
	v_sub_f16_e32 v12, v7, v5
	v_add_f16_e32 v13, v19, v32
	v_add_f16_e32 v5, v7, v5
	v_mul_u32_u24_e32 v7, 0x48, v10
	v_lshlrev_b32_e32 v10, 2, v28
	v_add_f16_e32 v14, v4, v11
	v_add_f16_e32 v6, v6, v31
	v_sub_f16_e32 v4, v4, v11
	v_perm_b32 v11, v25, v21, 0x5040100
	v_add3_u32 v7, 0, v7, v10
	v_pack_b32_f16 v5, v14, v5
	v_pack_b32_f16 v10, v15, v13
	;; [unrolled: 1-line block ×4, first 2 shown]
	v_perm_b32 v9, v24, v20, 0x5040100
	ds_store_2addr_b32 v7, v5, v10 offset1:3
	ds_store_2addr_b32 v7, v6, v4 offset0:6 offset1:9
	ds_store_2addr_b32 v7, v9, v11 offset0:12 offset1:15
.LBB0_23:
	s_wait_alu 0xfffe
	s_or_b32 exec_lo, exec_lo, s2
	v_mul_lo_u16 v4, v8, 57
	global_wb scope:SCOPE_SE
	s_wait_dscnt 0x0
	s_barrier_signal -1
	s_barrier_wait -1
	global_inv scope:SCOPE_SE
	v_lshrrev_b16 v19, 10, v4
	v_add_nc_u32_e32 v28, 0x200, v22
	v_add_nc_u32_e32 v27, 0x800, v22
	;; [unrolled: 1-line block ×4, first 2 shown]
	v_mul_lo_u16 v4, v19, 18
	v_and_b32_e32 v19, 0xffff, v19
	s_delay_alu instid0(VALU_DEP_2) | instskip(NEXT) | instid1(VALU_DEP_2)
	v_sub_nc_u16 v4, v0, v4
	v_mul_u32_u24_e32 v19, 0x120, v19
	s_delay_alu instid0(VALU_DEP_2) | instskip(NEXT) | instid1(VALU_DEP_1)
	v_and_b32_e32 v45, 0xff, v4
	v_mul_u32_u24_e32 v4, 15, v45
	s_delay_alu instid0(VALU_DEP_3) | instskip(NEXT) | instid1(VALU_DEP_2)
	v_or_b32_e32 v19, v19, v45
	v_lshlrev_b32_e32 v16, 2, v4
	s_delay_alu instid0(VALU_DEP_2)
	v_lshl_add_u32 v19, v19, 2, 0
	s_clause 0x3
	global_load_b128 v[4:7], v16, s[4:5] offset:60
	global_load_b128 v[8:11], v16, s[4:5] offset:76
	;; [unrolled: 1-line block ×3, first 2 shown]
	global_load_b96 v[16:18], v16, s[4:5] offset:108
	ds_load_2addr_b32 v[29:30], v22 offset1:54
	ds_load_2addr_b32 v[31:32], v22 offset0:108 offset1:162
	ds_load_2addr_b32 v[33:34], v28 offset0:88 offset1:142
	;; [unrolled: 1-line block ×7, first 2 shown]
	v_add_nc_u32_e32 v61, 0x200, v19
	global_wb scope:SCOPE_SE
	s_wait_loadcnt_dscnt 0x0
	s_barrier_signal -1
	s_barrier_wait -1
	global_inv scope:SCOPE_SE
	v_lshrrev_b32_e32 v50, 16, v34
	v_lshrrev_b32_e32 v46, 16, v30
	;; [unrolled: 1-line block ×31, first 2 shown]
	v_mul_f16_e32 v77, v62, v46
	v_mul_f16_e32 v62, v62, v30
	;; [unrolled: 1-line block ×30, first 2 shown]
	v_fmac_f16_e32 v77, v4, v30
	v_fma_f16 v4, v4, v46, -v62
	v_fmac_f16_e32 v78, v5, v31
	v_fma_f16 v5, v5, v47, -v63
	;; [unrolled: 2-line block ×15, first 2 shown]
	v_sub_f16_e32 v30, v29, v84
	v_sub_f16_e32 v11, v49, v11
	;; [unrolled: 1-line block ×16, first 2 shown]
	v_fma_f16 v29, v29, 2.0, -v30
	v_fma_f16 v39, v80, 2.0, -v31
	;; [unrolled: 1-line block ×12, first 2 shown]
	v_add_f16_e32 v15, v30, v15
	v_sub_f16_e32 v31, v11, v31
	v_add_f16_e32 v17, v32, v17
	v_sub_f16_e32 v33, v13, v33
	;; [unrolled: 2-line block ×4, first 2 shown]
	v_fma_f16 v38, v49, 2.0, -v11
	v_fma_f16 v5, v5, 2.0, -v13
	v_fma_f16 v4, v4, 2.0, -v12
	v_fma_f16 v6, v6, 2.0, -v14
	v_sub_f16_e32 v39, v29, v39
	v_fma_f16 v46, v30, 2.0, -v15
	v_fma_f16 v11, v11, 2.0, -v31
	v_sub_f16_e32 v30, v40, v41
	v_fma_f16 v32, v32, 2.0, -v17
	v_fma_f16 v13, v13, 2.0, -v33
	;; [unrolled: 3-line block ×4, first 2 shown]
	v_fmamk_f16 v45, v17, 0x39a8, v15
	v_fmamk_f16 v47, v33, 0x39a8, v31
	v_sub_f16_e32 v7, v38, v7
	v_sub_f16_e32 v9, v5, v9
	;; [unrolled: 1-line block ×4, first 2 shown]
	v_fmamk_f16 v48, v18, 0x39a8, v16
	v_fmamk_f16 v49, v37, 0x39a8, v35
	v_fma_f16 v50, v29, 2.0, -v39
	v_fma_f16 v29, v40, 2.0, -v30
	;; [unrolled: 1-line block ×4, first 2 shown]
	v_fmamk_f16 v44, v32, 0xb9a8, v46
	v_fmamk_f16 v51, v13, 0xb9a8, v11
	v_fmac_f16_e32 v45, 0x39a8, v33
	v_fmac_f16_e32 v47, 0xb9a8, v17
	v_fmamk_f16 v17, v36, 0xb9a8, v34
	v_fmamk_f16 v33, v14, 0xb9a8, v12
	v_fma_f16 v5, v5, 2.0, -v9
	v_fma_f16 v6, v6, 2.0, -v10
	v_add_f16_e32 v9, v39, v9
	v_sub_f16_e32 v52, v7, v30
	v_add_f16_e32 v10, v41, v10
	v_sub_f16_e32 v43, v8, v43
	v_fmac_f16_e32 v48, 0x39a8, v37
	v_fmac_f16_e32 v49, 0xb9a8, v18
	v_fma_f16 v38, v38, 2.0, -v7
	v_fma_f16 v4, v4, 2.0, -v8
	v_sub_f16_e32 v18, v50, v29
	v_fmac_f16_e32 v44, 0x39a8, v13
	v_fmac_f16_e32 v51, 0xb9a8, v32
	v_sub_f16_e32 v32, v40, v42
	v_fmac_f16_e32 v17, 0x39a8, v14
	v_fmac_f16_e32 v33, 0xb9a8, v36
	v_fma_f16 v13, v39, 2.0, -v9
	v_fma_f16 v7, v7, 2.0, -v52
	;; [unrolled: 1-line block ×8, first 2 shown]
	v_sub_f16_e32 v5, v38, v5
	v_sub_f16_e32 v6, v4, v6
	v_fmamk_f16 v36, v10, 0x39a8, v9
	v_fmamk_f16 v37, v43, 0x39a8, v52
	;; [unrolled: 1-line block ×4, first 2 shown]
	v_fma_f16 v39, v50, 2.0, -v18
	v_fma_f16 v41, v46, 2.0, -v44
	;; [unrolled: 1-line block ×6, first 2 shown]
	v_fmamk_f16 v42, v14, 0xb9a8, v13
	v_fmamk_f16 v46, v8, 0xb9a8, v7
	;; [unrolled: 1-line block ×6, first 2 shown]
	v_fma_f16 v4, v4, 2.0, -v6
	v_add_f16_e32 v6, v18, v6
	v_sub_f16_e32 v32, v5, v32
	v_fmac_f16_e32 v36, 0x39a8, v43
	v_fmac_f16_e32 v37, 0xb9a8, v10
	;; [unrolled: 1-line block ×4, first 2 shown]
	v_fma_f16 v38, v38, 2.0, -v5
	v_sub_f16_e32 v10, v39, v40
	v_fmamk_f16 v40, v34, 0xbb64, v41
	v_fmamk_f16 v43, v12, 0xbb64, v11
	v_fmac_f16_e32 v42, 0x39a8, v8
	v_fmac_f16_e32 v46, 0xb9a8, v14
	;; [unrolled: 1-line block ×6, first 2 shown]
	v_fma_f16 v8, v18, 2.0, -v6
	v_fma_f16 v5, v5, 2.0, -v32
	;; [unrolled: 1-line block ×6, first 2 shown]
	v_sub_f16_e32 v4, v38, v4
	v_fmac_f16_e32 v40, 0x361f, v12
	v_fmac_f16_e32 v43, 0xb61f, v34
	v_fma_f16 v12, v13, 2.0, -v42
	v_fma_f16 v7, v7, 2.0, -v46
	;; [unrolled: 1-line block ×6, first 2 shown]
	v_pack_b32_f16 v5, v8, v5
	v_pack_b32_f16 v8, v9, v14
	;; [unrolled: 1-line block ×6, first 2 shown]
	v_fma_f16 v33, v39, 2.0, -v10
	v_fma_f16 v35, v38, 2.0, -v4
	;; [unrolled: 1-line block ×4, first 2 shown]
	v_pack_b32_f16 v4, v10, v4
	v_pack_b32_f16 v10, v42, v46
	;; [unrolled: 1-line block ×7, first 2 shown]
	ds_store_2addr_b32 v19, v8, v9 offset0:108 offset1:126
	v_pack_b32_f16 v8, v40, v43
	ds_store_2addr_b32 v61, v18, v32 offset0:124 offset1:142
	v_pack_b32_f16 v18, v33, v35
	v_pack_b32_f16 v9, v17, v11
	ds_store_2addr_b32 v19, v10, v14 offset0:180 offset1:198
	ds_store_2addr_b32 v19, v6, v16 offset0:216 offset1:234
	;; [unrolled: 1-line block ×5, first 2 shown]
	ds_store_2addr_b32 v19, v18, v9 offset1:18
	global_wb scope:SCOPE_SE
	s_wait_dscnt 0x0
	s_barrier_signal -1
	s_barrier_wait -1
	global_inv scope:SCOPE_SE
	ds_load_2addr_b32 v[8:9], v22 offset1:54
	ds_load_2addr_b32 v[4:5], v28 offset0:88 offset1:160
	ds_load_2addr_b32 v[18:19], v27 offset0:64 offset1:118
	;; [unrolled: 1-line block ×6, first 2 shown]
	ds_load_b32 v31, v22 offset:3168
	s_and_saveexec_b32 s1, s0
	s_cbranch_execz .LBB0_25
; %bb.24:
	ds_load_b32 v29, v22 offset:1080
	ds_load_b32 v20, v22 offset:2232
	;; [unrolled: 1-line block ×3, first 2 shown]
	s_wait_dscnt 0x2
	v_lshrrev_b32_e32 v30, 16, v29
	s_wait_dscnt 0x1
	v_lshrrev_b32_e32 v24, 16, v20
	;; [unrolled: 2-line block ×3, first 2 shown]
.LBB0_25:
	s_wait_alu 0xfffe
	s_or_b32 exec_lo, exec_lo, s1
	v_dual_mov_b32 v11, 0 :: v_dual_lshlrev_b32 v10, 1, v0
	v_lshlrev_b32_e32 v32, 1, v23
	v_lshlrev_b32_e32 v34, 1, v1
	s_wait_dscnt 0x5
	v_lshrrev_b32_e32 v52, 16, v18
	v_mov_b32_e32 v35, v11
	v_mov_b32_e32 v33, v11
	v_lshlrev_b64_e32 v[36:37], 2, v[10:11]
	v_dual_mov_b32 v39, v11 :: v_dual_add_nc_u32 v38, 0x144, v10
	s_delay_alu instid0(VALU_DEP_4) | instskip(NEXT) | instid1(VALU_DEP_4)
	v_lshlrev_b64_e32 v[34:35], 2, v[34:35]
	v_lshlrev_b64_e32 v[32:33], 2, v[32:33]
	v_add_nc_u32_e32 v10, 0x1b0, v10
	v_add_co_u32 v36, s1, s4, v36
	s_wait_alu 0xf1ff
	v_add_co_ci_u32_e64 v37, s1, s5, v37, s1
	s_delay_alu instid0(VALU_DEP_4)
	v_add_co_u32 v32, s1, s4, v32
	v_lshlrev_b64_e32 v[38:39], 2, v[38:39]
	s_wait_alu 0xf1ff
	v_add_co_ci_u32_e64 v33, s1, s5, v33, s1
	v_add_co_u32 v34, s1, s4, v34
	v_lshlrev_b64_e32 v[40:41], 2, v[10:11]
	s_wait_alu 0xf1ff
	v_add_co_ci_u32_e64 v35, s1, s5, v35, s1
	v_add_co_u32 v38, s1, s4, v38
	s_clause 0x1
	global_load_b64 v[36:37], v[36:37], off offset:1140
	global_load_b64 v[32:33], v[32:33], off offset:1140
	s_wait_alu 0xf1ff
	v_add_co_ci_u32_e64 v39, s1, s5, v39, s1
	v_add_co_u32 v40, s1, s4, v40
	s_wait_alu 0xf1ff
	v_add_co_ci_u32_e64 v41, s1, s5, v41, s1
	s_clause 0x2
	global_load_b64 v[34:35], v[34:35], off offset:1140
	global_load_b64 v[38:39], v[38:39], off offset:1140
	;; [unrolled: 1-line block ×3, first 2 shown]
	v_lshrrev_b32_e32 v53, 16, v5
	s_wait_dscnt 0x2
	v_lshrrev_b32_e32 v48, 16, v14
	v_lshrrev_b32_e32 v50, 16, v19
	;; [unrolled: 1-line block ×5, first 2 shown]
	s_wait_dscnt 0x1
	v_lshrrev_b32_e32 v47, 16, v12
	v_lshrrev_b32_e32 v45, 16, v13
	s_wait_dscnt 0x0
	v_lshrrev_b32_e32 v46, 16, v31
	v_lshrrev_b32_e32 v1, 16, v8
	;; [unrolled: 1-line block ×6, first 2 shown]
	global_wb scope:SCOPE_SE
	s_wait_loadcnt 0x0
	s_barrier_signal -1
	s_barrier_wait -1
	global_inv scope:SCOPE_SE
	v_lshrrev_b32_e32 v54, 16, v36
	v_lshrrev_b32_e32 v55, 16, v37
	;; [unrolled: 1-line block ×4, first 2 shown]
	s_delay_alu instid0(VALU_DEP_4)
	v_mul_f16_e32 v56, v54, v53
	v_mul_f16_e32 v54, v54, v5
	;; [unrolled: 1-line block ×4, first 2 shown]
	v_lshrrev_b32_e32 v61, 16, v35
	v_lshrrev_b32_e32 v60, 16, v34
	;; [unrolled: 1-line block ×6, first 2 shown]
	v_fmac_f16_e32 v56, v36, v5
	v_fma_f16 v5, v36, v53, -v54
	v_fmac_f16_e32 v57, v37, v18
	v_fma_f16 v18, v37, v52, -v55
	v_mul_f16_e32 v36, v58, v51
	v_mul_f16_e32 v37, v58, v16
	;; [unrolled: 1-line block ×16, first 2 shown]
	v_fmac_f16_e32 v36, v32, v16
	v_fma_f16 v16, v32, v51, -v37
	v_fmac_f16_e32 v52, v33, v19
	v_fma_f16 v19, v33, v50, -v53
	;; [unrolled: 2-line block ×3, first 2 shown]
	v_add_f16_e32 v33, v56, v57
	v_add_f16_e32 v35, v1, v5
	v_fmac_f16_e32 v54, v34, v17
	v_fma_f16 v17, v34, v49, -v55
	v_sub_f16_e32 v34, v5, v18
	v_add_f16_e32 v5, v5, v18
	v_fmac_f16_e32 v60, v38, v12
	v_fma_f16 v12, v38, v47, -v61
	v_fmac_f16_e32 v62, v15, v39
	v_fma_f16 v15, v43, v39, -v63
	v_fmac_f16_e32 v66, v13, v40
	v_fma_f16 v13, v45, v40, -v64
	v_fmac_f16_e32 v67, v31, v41
	v_fma_f16 v31, v46, v41, -v65
	v_add_f16_e32 v32, v8, v56
	v_fma_f16 v8, -0.5, v33, v8
	v_add_f16_e32 v18, v35, v18
	v_add_f16_e32 v33, v36, v52
	v_sub_f16_e32 v35, v16, v19
	v_add_f16_e32 v38, v10, v16
	v_add_f16_e32 v16, v16, v19
	v_fmac_f16_e32 v1, -0.5, v5
	v_add_f16_e32 v5, v9, v36
	v_add_f16_e32 v40, v54, v58
	v_sub_f16_e32 v41, v17, v14
	v_add_f16_e32 v43, v23, v17
	v_add_f16_e32 v17, v17, v14
	;; [unrolled: 1-line block ×3, first 2 shown]
	v_sub_f16_e32 v48, v12, v15
	v_add_f16_e32 v49, v42, v12
	v_add_f16_e32 v12, v12, v15
	v_sub_f16_e32 v37, v56, v57
	v_add_f16_e32 v39, v6, v54
	v_sub_f16_e32 v45, v54, v58
	v_add_f16_e32 v46, v7, v60
	v_add_f16_e32 v51, v4, v66
	;; [unrolled: 1-line block ×3, first 2 shown]
	v_sub_f16_e32 v54, v13, v31
	v_add_f16_e32 v55, v44, v13
	v_add_f16_e32 v13, v13, v31
	;; [unrolled: 1-line block ×3, first 2 shown]
	v_sub_f16_e32 v36, v36, v52
	v_fmac_f16_e32 v9, -0.5, v33
	v_fmac_f16_e32 v10, -0.5, v16
	v_add_f16_e32 v5, v5, v52
	v_add_f16_e32 v19, v38, v19
	v_fma_f16 v6, -0.5, v40, v6
	v_fmac_f16_e32 v23, -0.5, v17
	v_sub_f16_e32 v50, v60, v62
	v_fmac_f16_e32 v7, -0.5, v47
	v_fmac_f16_e32 v42, -0.5, v12
	v_sub_f16_e32 v56, v66, v67
	v_fmamk_f16 v57, v34, 0xbaee, v8
	v_fmac_f16_e32 v8, 0x3aee, v34
	v_fmamk_f16 v34, v37, 0x3aee, v1
	v_fmac_f16_e32 v1, 0xbaee, v37
	v_add_f16_e32 v16, v39, v58
	v_add_f16_e32 v14, v43, v14
	;; [unrolled: 1-line block ×5, first 2 shown]
	v_fmac_f16_e32 v4, -0.5, v53
	v_add_f16_e32 v31, v55, v31
	v_fmac_f16_e32 v44, -0.5, v13
	v_pack_b32_f16 v13, v32, v18
	v_fmamk_f16 v18, v35, 0xbaee, v9
	v_fmac_f16_e32 v9, 0x3aee, v35
	v_fmamk_f16 v32, v36, 0x3aee, v10
	v_fmac_f16_e32 v10, 0xbaee, v36
	v_fmamk_f16 v33, v41, 0xbaee, v6
	v_fmamk_f16 v35, v45, 0x3aee, v23
	v_pack_b32_f16 v5, v5, v19
	v_fmac_f16_e32 v6, 0x3aee, v41
	v_fmac_f16_e32 v23, 0xbaee, v45
	v_fmamk_f16 v36, v48, 0xbaee, v7
	v_fmac_f16_e32 v7, 0x3aee, v48
	v_fmamk_f16 v37, v50, 0x3aee, v42
	;; [unrolled: 2-line block ×3, first 2 shown]
	v_fmamk_f16 v39, v56, 0x3aee, v44
	v_pack_b32_f16 v34, v57, v34
	v_pack_b32_f16 v1, v8, v1
	;; [unrolled: 1-line block ×5, first 2 shown]
	v_fmac_f16_e32 v4, 0x3aee, v54
	v_fmac_f16_e32 v44, 0xbaee, v56
	v_pack_b32_f16 v9, v9, v10
	ds_store_2addr_b32 v22, v13, v5 offset1:54
	v_pack_b32_f16 v5, v18, v32
	v_pack_b32_f16 v10, v33, v35
	;; [unrolled: 1-line block ×4, first 2 shown]
	ds_store_2addr_b32 v22, v8, v14 offset0:108 offset1:162
	v_pack_b32_f16 v8, v36, v37
	ds_store_2addr_b32 v28, v12, v34 offset0:88 offset1:160
	v_pack_b32_f16 v12, v38, v39
	v_pack_b32_f16 v4, v4, v44
	ds_store_2addr_b32 v27, v1, v9 offset0:64 offset1:118
	ds_store_2addr_b32 v26, v5, v10 offset0:86 offset1:140
	;; [unrolled: 1-line block ×4, first 2 shown]
	ds_store_b32 v22, v4 offset:3168
	s_and_saveexec_b32 s1, s0
	s_cbranch_execz .LBB0_27
; %bb.26:
	v_mov_b32_e32 v1, 0x10e
	s_delay_alu instid0(VALU_DEP_1) | instskip(NEXT) | instid1(VALU_DEP_1)
	v_cndmask_b32_e64 v1, 0xffffffee, v1, s0
	v_add_lshl_u32 v10, v0, v1, 1
	s_delay_alu instid0(VALU_DEP_1) | instskip(NEXT) | instid1(VALU_DEP_1)
	v_lshlrev_b64_e32 v[4:5], 2, v[10:11]
	v_add_co_u32 v4, s0, s4, v4
	s_wait_alu 0xf1ff
	s_delay_alu instid0(VALU_DEP_2) | instskip(SKIP_4) | instid1(VALU_DEP_2)
	v_add_co_ci_u32_e64 v5, s0, s5, v5, s0
	global_load_b64 v[4:5], v[4:5], off offset:1140
	s_wait_loadcnt 0x0
	v_lshrrev_b32_e32 v1, 16, v5
	v_lshrrev_b32_e32 v6, 16, v4
	v_mul_f16_e32 v7, v21, v1
	s_delay_alu instid0(VALU_DEP_2) | instskip(SKIP_2) | instid1(VALU_DEP_4)
	v_mul_f16_e32 v8, v20, v6
	v_mul_f16_e32 v6, v24, v6
	v_mul_f16_e32 v1, v25, v1
	v_fma_f16 v7, v25, v5, -v7
	s_delay_alu instid0(VALU_DEP_4) | instskip(NEXT) | instid1(VALU_DEP_4)
	v_fma_f16 v8, v24, v4, -v8
	v_fmac_f16_e32 v6, v20, v4
	s_delay_alu instid0(VALU_DEP_4) | instskip(NEXT) | instid1(VALU_DEP_3)
	v_fmac_f16_e32 v1, v21, v5
	v_add_f16_e32 v4, v8, v7
	v_add_f16_e32 v5, v30, v8
	s_delay_alu instid0(VALU_DEP_3)
	v_add_f16_e32 v9, v6, v1
	v_add_f16_e32 v10, v29, v6
	v_sub_f16_e32 v6, v6, v1
	v_fmac_f16_e32 v30, -0.5, v4
	v_sub_f16_e32 v4, v8, v7
	v_fmac_f16_e32 v29, -0.5, v9
	v_add_f16_e32 v5, v5, v7
	v_add_f16_e32 v1, v10, v1
	v_fmamk_f16 v7, v6, 0xbaee, v30
	v_fmac_f16_e32 v30, 0x3aee, v6
	v_fmamk_f16 v6, v4, 0x3aee, v29
	v_fmac_f16_e32 v29, 0xbaee, v4
	v_pack_b32_f16 v1, v1, v5
	s_delay_alu instid0(VALU_DEP_3) | instskip(NEXT) | instid1(VALU_DEP_3)
	v_pack_b32_f16 v5, v6, v7
	v_pack_b32_f16 v4, v29, v30
	ds_store_b32 v22, v1 offset:1080
	ds_store_b32 v22, v4 offset:2232
	ds_store_b32 v22, v5 offset:3384
.LBB0_27:
	s_wait_alu 0xfffe
	s_or_b32 exec_lo, exec_lo, s1
	global_wb scope:SCOPE_SE
	s_wait_dscnt 0x0
	s_barrier_signal -1
	s_barrier_wait -1
	global_inv scope:SCOPE_SE
	s_and_saveexec_b32 s0, vcc_lo
	s_cbranch_execz .LBB0_29
; %bb.28:
	v_dual_mov_b32 v1, 0 :: v_dual_add_nc_u32 v4, 54, v0
	v_add_co_u32 v31, vcc_lo, s8, v2
	s_wait_alu 0xfffd
	v_add_co_ci_u32_e32 v32, vcc_lo, s9, v3, vcc_lo
	s_delay_alu instid0(VALU_DEP_3) | instskip(SKIP_3) | instid1(VALU_DEP_4)
	v_dual_mov_b32 v5, v1 :: v_dual_add_nc_u32 v8, 0x6c, v0
	v_lshlrev_b64_e32 v[2:3], 2, v[0:1]
	v_dual_mov_b32 v9, v1 :: v_dual_add_nc_u32 v10, 0xa2, v0
	v_lshl_add_u32 v30, v0, 2, 0
	v_lshlrev_b64_e32 v[4:5], 2, v[4:5]
	v_dual_mov_b32 v11, v1 :: v_dual_add_nc_u32 v14, 0xd8, v0
	v_add_co_u32 v2, vcc_lo, v31, v2
	v_lshlrev_b64_e32 v[8:9], 2, v[8:9]
	v_dual_mov_b32 v15, v1 :: v_dual_add_nc_u32 v16, 0x200, v30
	s_wait_alu 0xfffd
	v_add_co_ci_u32_e32 v3, vcc_lo, v32, v3, vcc_lo
	ds_load_2addr_b32 v[6:7], v30 offset1:54
	v_add_co_u32 v4, vcc_lo, v31, v4
	v_lshlrev_b64_e32 v[10:11], 2, v[10:11]
	v_dual_mov_b32 v19, v1 :: v_dual_add_nc_u32 v18, 0x10e, v0
	v_add_nc_u32_e32 v33, 0x400, v30
	s_wait_alu 0xfffd
	v_add_co_ci_u32_e32 v5, vcc_lo, v32, v5, vcc_lo
	ds_load_2addr_b32 v[12:13], v30 offset0:108 offset1:162
	v_add_co_u32 v8, vcc_lo, v31, v8
	v_lshlrev_b64_e32 v[14:15], 2, v[14:15]
	ds_load_2addr_b32 v[16:17], v16 offset0:88 offset1:142
	v_dual_mov_b32 v21, v1 :: v_dual_add_nc_u32 v20, 0x144, v0
	s_wait_alu 0xfffd
	v_add_co_ci_u32_e32 v9, vcc_lo, v32, v9, vcc_lo
	v_add_co_u32 v10, vcc_lo, v31, v10
	v_lshlrev_b64_e32 v[18:19], 2, v[18:19]
	ds_load_2addr_b32 v[24:25], v33 offset0:68 offset1:122
	v_dual_mov_b32 v23, v1 :: v_dual_add_nc_u32 v22, 0x17a, v0
	s_wait_alu 0xfffd
	v_add_co_ci_u32_e32 v11, vcc_lo, v32, v11, vcc_lo
	v_add_co_u32 v14, vcc_lo, v31, v14
	v_lshlrev_b64_e32 v[20:21], 2, v[20:21]
	s_wait_alu 0xfffd
	v_add_co_ci_u32_e32 v15, vcc_lo, v32, v15, vcc_lo
	v_add_co_u32 v18, vcc_lo, v31, v18
	v_lshlrev_b64_e32 v[22:23], 2, v[22:23]
	s_wait_alu 0xfffd
	v_add_co_ci_u32_e32 v19, vcc_lo, v32, v19, vcc_lo
	v_add_co_u32 v20, vcc_lo, v31, v20
	v_dual_mov_b32 v27, v1 :: v_dual_add_nc_u32 v26, 0x1b0, v0
	s_wait_alu 0xfffd
	v_add_co_ci_u32_e32 v21, vcc_lo, v32, v21, vcc_lo
	v_add_co_u32 v22, vcc_lo, v31, v22
	v_dual_mov_b32 v29, v1 :: v_dual_add_nc_u32 v28, 0x1e6, v0
	s_wait_alu 0xfffd
	v_add_co_ci_u32_e32 v23, vcc_lo, v32, v23, vcc_lo
	s_wait_dscnt 0x3
	s_clause 0x1
	global_store_b32 v[2:3], v6, off
	global_store_b32 v[4:5], v7, off
	s_wait_dscnt 0x2
	s_clause 0x1
	global_store_b32 v[8:9], v12, off
	global_store_b32 v[10:11], v13, off
	;; [unrolled: 4-line block ×4, first 2 shown]
	v_lshlrev_b64_e32 v[2:3], 2, v[26:27]
	v_dual_mov_b32 v9, v1 :: v_dual_add_nc_u32 v8, 0x21c, v0
	v_lshlrev_b64_e32 v[6:7], 2, v[28:29]
	v_dual_mov_b32 v13, v1 :: v_dual_add_nc_u32 v18, 0x800, v30
	v_dual_mov_b32 v15, v1 :: v_dual_add_nc_u32 v12, 0x252, v0
	v_add_co_u32 v2, vcc_lo, v31, v2
	v_lshlrev_b64_e32 v[8:9], 2, v[8:9]
	v_dual_mov_b32 v17, v1 :: v_dual_add_nc_u32 v14, 0x288, v0
	s_wait_alu 0xfffd
	v_add_co_ci_u32_e32 v3, vcc_lo, v32, v3, vcc_lo
	ds_load_2addr_b32 v[4:5], v33 offset0:176 offset1:230
	v_add_co_u32 v6, vcc_lo, v31, v6
	v_lshlrev_b64_e32 v[12:13], 2, v[12:13]
	v_dual_mov_b32 v21, v1 :: v_dual_add_nc_u32 v16, 0x2be, v0
	v_add_nc_u32_e32 v22, 0xa00, v30
	s_wait_alu 0xfffd
	v_add_co_ci_u32_e32 v7, vcc_lo, v32, v7, vcc_lo
	ds_load_2addr_b32 v[10:11], v18 offset0:28 offset1:82
	v_add_co_u32 v8, vcc_lo, v31, v8
	v_lshlrev_b64_e32 v[14:15], 2, v[14:15]
	ds_load_2addr_b32 v[18:19], v18 offset0:136 offset1:190
	v_add_nc_u32_e32 v20, 0x2f4, v0
	s_wait_alu 0xfffd
	v_add_co_ci_u32_e32 v9, vcc_lo, v32, v9, vcc_lo
	v_add_co_u32 v12, vcc_lo, v31, v12
	v_lshlrev_b64_e32 v[16:17], 2, v[16:17]
	ds_load_2addr_b32 v[22:23], v22 offset0:116 offset1:170
	v_add_nc_u32_e32 v0, 0x32a, v0
	s_wait_alu 0xfffd
	v_add_co_ci_u32_e32 v13, vcc_lo, v32, v13, vcc_lo
	v_add_co_u32 v14, vcc_lo, v31, v14
	v_lshlrev_b64_e32 v[20:21], 2, v[20:21]
	s_wait_alu 0xfffd
	v_add_co_ci_u32_e32 v15, vcc_lo, v32, v15, vcc_lo
	v_add_co_u32 v16, vcc_lo, v31, v16
	v_lshlrev_b64_e32 v[0:1], 2, v[0:1]
	s_wait_alu 0xfffd
	v_add_co_ci_u32_e32 v17, vcc_lo, v32, v17, vcc_lo
	v_add_co_u32 v20, vcc_lo, v31, v20
	s_wait_alu 0xfffd
	v_add_co_ci_u32_e32 v21, vcc_lo, v32, v21, vcc_lo
	v_add_co_u32 v0, vcc_lo, v31, v0
	s_wait_alu 0xfffd
	v_add_co_ci_u32_e32 v1, vcc_lo, v32, v1, vcc_lo
	s_wait_dscnt 0x3
	s_clause 0x1
	global_store_b32 v[2:3], v4, off
	global_store_b32 v[6:7], v5, off
	s_wait_dscnt 0x2
	s_clause 0x1
	global_store_b32 v[8:9], v10, off
	global_store_b32 v[12:13], v11, off
	s_wait_dscnt 0x1
	s_clause 0x1
	global_store_b32 v[14:15], v18, off
	global_store_b32 v[16:17], v19, off
	s_wait_dscnt 0x0
	s_clause 0x1
	global_store_b32 v[20:21], v22, off
	global_store_b32 v[0:1], v23, off
.LBB0_29:
	s_nop 0
	s_sendmsg sendmsg(MSG_DEALLOC_VGPRS)
	s_endpgm
	.section	.rodata,"a",@progbits
	.p2align	6, 0x0
	.amdhsa_kernel fft_rtc_back_len864_factors_3_6_16_3_wgs_54_tpt_54_halfLds_half_ip_CI_unitstride_sbrr_C2R_dirReg
		.amdhsa_group_segment_fixed_size 0
		.amdhsa_private_segment_fixed_size 0
		.amdhsa_kernarg_size 88
		.amdhsa_user_sgpr_count 2
		.amdhsa_user_sgpr_dispatch_ptr 0
		.amdhsa_user_sgpr_queue_ptr 0
		.amdhsa_user_sgpr_kernarg_segment_ptr 1
		.amdhsa_user_sgpr_dispatch_id 0
		.amdhsa_user_sgpr_private_segment_size 0
		.amdhsa_wavefront_size32 1
		.amdhsa_uses_dynamic_stack 0
		.amdhsa_enable_private_segment 0
		.amdhsa_system_sgpr_workgroup_id_x 1
		.amdhsa_system_sgpr_workgroup_id_y 0
		.amdhsa_system_sgpr_workgroup_id_z 0
		.amdhsa_system_sgpr_workgroup_info 0
		.amdhsa_system_vgpr_workitem_id 0
		.amdhsa_next_free_vgpr 92
		.amdhsa_next_free_sgpr 32
		.amdhsa_reserve_vcc 1
		.amdhsa_float_round_mode_32 0
		.amdhsa_float_round_mode_16_64 0
		.amdhsa_float_denorm_mode_32 3
		.amdhsa_float_denorm_mode_16_64 3
		.amdhsa_fp16_overflow 0
		.amdhsa_workgroup_processor_mode 1
		.amdhsa_memory_ordered 1
		.amdhsa_forward_progress 0
		.amdhsa_round_robin_scheduling 0
		.amdhsa_exception_fp_ieee_invalid_op 0
		.amdhsa_exception_fp_denorm_src 0
		.amdhsa_exception_fp_ieee_div_zero 0
		.amdhsa_exception_fp_ieee_overflow 0
		.amdhsa_exception_fp_ieee_underflow 0
		.amdhsa_exception_fp_ieee_inexact 0
		.amdhsa_exception_int_div_zero 0
	.end_amdhsa_kernel
	.text
.Lfunc_end0:
	.size	fft_rtc_back_len864_factors_3_6_16_3_wgs_54_tpt_54_halfLds_half_ip_CI_unitstride_sbrr_C2R_dirReg, .Lfunc_end0-fft_rtc_back_len864_factors_3_6_16_3_wgs_54_tpt_54_halfLds_half_ip_CI_unitstride_sbrr_C2R_dirReg
                                        ; -- End function
	.section	.AMDGPU.csdata,"",@progbits
; Kernel info:
; codeLenInByte = 10716
; NumSgprs: 34
; NumVgprs: 92
; ScratchSize: 0
; MemoryBound: 0
; FloatMode: 240
; IeeeMode: 1
; LDSByteSize: 0 bytes/workgroup (compile time only)
; SGPRBlocks: 4
; VGPRBlocks: 11
; NumSGPRsForWavesPerEU: 34
; NumVGPRsForWavesPerEU: 92
; Occupancy: 16
; WaveLimiterHint : 1
; COMPUTE_PGM_RSRC2:SCRATCH_EN: 0
; COMPUTE_PGM_RSRC2:USER_SGPR: 2
; COMPUTE_PGM_RSRC2:TRAP_HANDLER: 0
; COMPUTE_PGM_RSRC2:TGID_X_EN: 1
; COMPUTE_PGM_RSRC2:TGID_Y_EN: 0
; COMPUTE_PGM_RSRC2:TGID_Z_EN: 0
; COMPUTE_PGM_RSRC2:TIDIG_COMP_CNT: 0
	.text
	.p2alignl 7, 3214868480
	.fill 96, 4, 3214868480
	.type	__hip_cuid_d28078b3f7f4edfd,@object ; @__hip_cuid_d28078b3f7f4edfd
	.section	.bss,"aw",@nobits
	.globl	__hip_cuid_d28078b3f7f4edfd
__hip_cuid_d28078b3f7f4edfd:
	.byte	0                               ; 0x0
	.size	__hip_cuid_d28078b3f7f4edfd, 1

	.ident	"AMD clang version 19.0.0git (https://github.com/RadeonOpenCompute/llvm-project roc-6.4.0 25133 c7fe45cf4b819c5991fe208aaa96edf142730f1d)"
	.section	".note.GNU-stack","",@progbits
	.addrsig
	.addrsig_sym __hip_cuid_d28078b3f7f4edfd
	.amdgpu_metadata
---
amdhsa.kernels:
  - .args:
      - .actual_access:  read_only
        .address_space:  global
        .offset:         0
        .size:           8
        .value_kind:     global_buffer
      - .offset:         8
        .size:           8
        .value_kind:     by_value
      - .actual_access:  read_only
        .address_space:  global
        .offset:         16
        .size:           8
        .value_kind:     global_buffer
      - .actual_access:  read_only
        .address_space:  global
        .offset:         24
        .size:           8
        .value_kind:     global_buffer
      - .offset:         32
        .size:           8
        .value_kind:     by_value
      - .actual_access:  read_only
        .address_space:  global
        .offset:         40
        .size:           8
        .value_kind:     global_buffer
      - .actual_access:  read_only
        .address_space:  global
        .offset:         48
        .size:           8
        .value_kind:     global_buffer
      - .offset:         56
        .size:           4
        .value_kind:     by_value
      - .actual_access:  read_only
        .address_space:  global
        .offset:         64
        .size:           8
        .value_kind:     global_buffer
      - .actual_access:  read_only
        .address_space:  global
        .offset:         72
        .size:           8
        .value_kind:     global_buffer
      - .address_space:  global
        .offset:         80
        .size:           8
        .value_kind:     global_buffer
    .group_segment_fixed_size: 0
    .kernarg_segment_align: 8
    .kernarg_segment_size: 88
    .language:       OpenCL C
    .language_version:
      - 2
      - 0
    .max_flat_workgroup_size: 54
    .name:           fft_rtc_back_len864_factors_3_6_16_3_wgs_54_tpt_54_halfLds_half_ip_CI_unitstride_sbrr_C2R_dirReg
    .private_segment_fixed_size: 0
    .sgpr_count:     34
    .sgpr_spill_count: 0
    .symbol:         fft_rtc_back_len864_factors_3_6_16_3_wgs_54_tpt_54_halfLds_half_ip_CI_unitstride_sbrr_C2R_dirReg.kd
    .uniform_work_group_size: 1
    .uses_dynamic_stack: false
    .vgpr_count:     92
    .vgpr_spill_count: 0
    .wavefront_size: 32
    .workgroup_processor_mode: 1
amdhsa.target:   amdgcn-amd-amdhsa--gfx1201
amdhsa.version:
  - 1
  - 2
...

	.end_amdgpu_metadata
